;; amdgpu-corpus repo=llvm/llvm-project kind=harvested arch=n/a opt=n/a
// RUN: llvm-mc -triple amdgcn--amdpal %s | FileCheck %s

	.amdgpu_pal_metadata
---
amdpal.pipelines:
  - .hardware_stages:
      .ps:
        .entry_point:    ps_amdpal
        .scratch_memory_size: 0
        .sgpr_count:     0x1
        .vgpr_count:     0x1
    .internal_pipeline_hash:
      - 0x123456789abcdef0
      - 0xfedcba9876543210
    .registers:
      0x2c06: 0
      0x2c07: 0
      0x2c0a: 0
      0x2c0b: 0
      0x2c0c: 0
      0x2c0d: 0
      0x2c0e: 0
      0x2c0f: 0
      0x2c10: 0
      0x2c11: 0
      0x2c12: 0
      0x2c13: 0
      0x2c14: 0
      0x2c15: 0
      0x2c16: 0
      0x2c17: 0
      0x2c18: 0
      0x2c19: 0
      0x2c1a: 0
      0x2c1b: 0
      0x2c1c: 0
      0x2c1d: 0
      0x2c1e: 0
      0x2c1f: 0
      0x2c20: 0
      0x2c21: 0
      0x2c22: 0
      0x2c23: 0
      0x2c24: 0
      0x2c25: 0
      0x2c26: 0
      0x2c27: 0
      0x2c28: 0
      0x2c29: 0
      0x2c2a: 0
      0x2c2b: 0
      0x2c32: 0
      0x2c33: 0
      0x2c34: 0
      0x2c35: 0
      0x2c45: 0
      0x2c46: 0
      0x2c4a: 0
      0x2c4b: 0
      0x2c4c: 0
      0x2c4d: 0
      0x2c4e: 0
      0x2c4f: 0
      0x2c50: 0
      0x2c51: 0
      0x2c52: 0
      0x2c53: 0
      0x2c54: 0
      0x2c55: 0
      0x2c56: 0
      0x2c57: 0
      0x2c58: 0
      0x2c59: 0
      0x2c5a: 0
      0x2c5b: 0
      0x2c5c: 0
      0x2c5d: 0
      0x2c5e: 0
      0x2c5f: 0
      0x2c60: 0
      0x2c61: 0
      0x2c62: 0
      0x2c63: 0
      0x2c64: 0
      0x2c65: 0
      0x2c66: 0
      0x2c67: 0
      0x2c68: 0
      0x2c69: 0
      0x2c6a: 0
      0x2c6b: 0
      0x2c72: 0
      0x2c73: 0
      0x2c74: 0
      0x2c75: 0
      0x2c80: 0
      0x2c81: 0
      0x2c87: 0
      0x2c88: 0
      0x2c8a: 0
      0x2c8b: 0
      0x2c8c: 0
      0x2c8d: 0
      0x2c8e: 0
      0x2c8f: 0
      0x2c90: 0
      0x2c91: 0
      0x2c92: 0
      0x2c93: 0
      0x2c94: 0
      0x2c95: 0
      0x2c96: 0
      0x2c97: 0
      0x2c98: 0
      0x2c99: 0
      0x2c9a: 0
      0x2c9b: 0
      0x2c9c: 0
      0x2c9d: 0
      0x2c9e: 0
      0x2c9f: 0
      0x2ca0: 0
      0x2ca1: 0
      0x2ca2: 0
      0x2ca3: 0
      0x2ca4: 0
      0x2ca5: 0
      0x2ca6: 0
      0x2ca7: 0
      0x2ca8: 0
      0x2ca9: 0
      0x2caa: 0
      0x2cab: 0
      0x2cb2: 0
      0x2cb3: 0
      0x2cb4: 0
      0x2cb5: 0
      0x2cc7: 0
      0x2cca: 0
      0x2ccb: 0
      0x2ccc: 0
      0x2ccd: 0
      0x2cce: 0
      0x2ccf: 0
      0x2cd0: 0
      0x2cd1: 0
      0x2cd2: 0
      0x2cd3: 0
      0x2cd4: 0
      0x2cd5: 0
      0x2cd6: 0
      0x2cd7: 0
      0x2cd8: 0
      0x2cd9: 0
      0x2cda: 0
      0x2cdb: 0
      0x2cdc: 0
      0x2cdd: 0
      0x2cde: 0
      0x2cdf: 0
      0x2ce0: 0
      0x2ce1: 0
      0x2ce2: 0
      0x2ce3: 0
      0x2ce4: 0
      0x2ce5: 0
      0x2ce6: 0
      0x2ce7: 0
      0x2ce8: 0
      0x2ce9: 0
      0x2cea: 0
      0x2ceb: 0
      0x2d00: 0
      0x2d07: 0
      0x2d0a: 0
      0x2d0b: 0
      0x2d0c: 0
      0x2d0d: 0
      0x2d0e: 0
      0x2d0f: 0
      0x2d10: 0
      0x2d11: 0
      0x2d12: 0
      0x2d13: 0
      0x2d14: 0
      0x2d15: 0
      0x2d16: 0
      0x2d17: 0
      0x2d18: 0
      0x2d19: 0
      0x2d1a: 0
      0x2d1b: 0
      0x2d1c: 0
      0x2d1d: 0
      0x2d1e: 0
      0x2d1f: 0
      0x2d20: 0
      0x2d21: 0
      0x2d22: 0
      0x2d23: 0
      0x2d24: 0
      0x2d25: 0
      0x2d26: 0
      0x2d27: 0
      0x2d28: 0
      0x2d29: 0
      0x2d2a: 0
      0x2d2b: 0
      0x2d32: 0
      0x2d33: 0
      0x2d34: 0
      0x2d35: 0
      0x2d47: 0
      0x2d4a: 0
      0x2d4b: 0
      0x2d4c: 0
      0x2d4d: 0
      0x2d4e: 0
      0x2d4f: 0
      0x2d50: 0
      0x2d51: 0
      0x2d52: 0
      0x2d53: 0
      0x2d54: 0
      0x2d55: 0
      0x2d56: 0
      0x2d57: 0
      0x2d58: 0
      0x2d59: 0
      0x2d5a: 0
      0x2d5b: 0
      0x2e00: 0
      0x2e07: 0
      0x2e08: 0
      0x2e09: 0
      0x2e12: 0
      0x2e13: 0
      0x2e18: 0
      0x2e24: 0
      0x2e25: 0
      0x2e26: 0
      0x2e27: 0
      0x2e28: 0
      0x2e2a: 0
      0x2e40: 0
      0x2e41: 0
      0x2e42: 0
      0x2e43: 0
      0x2e44: 0
      0x2e45: 0
      0x2e46: 0
      0x2e47: 0
      0x2e48: 0
      0x2e49: 0
      0x2e4a: 0
      0x2e4b: 0
      0x2e4c: 0
      0x2e4d: 0
      0x2e4e: 0
      0x2e4f: 0
      0x2e50: 0
      0x2e51: 0
      0x2e52: 0
      0x2e53: 0
      0x2e54: 0
      0x2e55: 0
      0x2e56: 0
      0x2e57: 0
      0x2e58: 0
      0x2e59: 0
      0x2e5a: 0
      0x2e5b: 0
      0x2e5c: 0
      0x2e5d: 0
      0x2e5e: 0
      0x2e5f: 0
      0xa08f: 0
      0xa191: 0
      0xa192: 0
      0xa193: 0
      0xa194: 0
      0xa195: 0
      0xa196: 0
      0xa197: 0
      0xa198: 0
      0xa199: 0
      0xa19a: 0
      0xa19b: 0
      0xa19c: 0
      0xa19d: 0
      0xa19e: 0
      0xa19f: 0
      0xa1a0: 0
      0xa1a1: 0
      0xa1a2: 0
      0xa1a3: 0
      0xa1a4: 0
      0xa1a5: 0
      0xa1a6: 0
      0xa1a7: 0
      0xa1a8: 0
      0xa1a9: 0
      0xa1aa: 0
      0xa1ab: 0
      0xa1ac: 0
      0xa1ad: 0
      0xa1ae: 0
      0xa1af: 0
      0xa1b0: 0
      0xa1b1: 0
      0xa1b3: 0
      0xa1b4: 0
      0xa1b5: 0
      0xa1b6: 0
      0xa1b8: 0
      0xa1ba: 0
      0xa1c2: 0
      0xa1c3: 0
      0xa1c4: 0
      0xa1c5: 0
      0xa1ff: 0
      0xa203: 0
      0xa204: 0
      0xa206: 0
      0xa207: 0
      0xa210: 0
      0xa286: 0
      0xa287: 0
      0xa290: 0
      0xa291: 0
      0xa293: 0
      0xa297: 0
      0xa298: 0
      0xa299: 0
      0xa29a: 0
      0xa29b: 0
      0xa2a1: 0
      0xa2a5: 0
      0xa2aa: 0
      0xa2ab: 0
      0xa2ac: 0
      0xa2ad: 0
      0xa2b5: 0
      0xa2b9: 0
      0xa2bd: 0
      0xa2c1: 0
      0xa2ce: 0
      0xa2d3: 0
      0xa2d5: 0
      0xa2d6: 0
      0xa2d7: 0
      0xa2d8: 0
      0xa2d9: 0
      0xa2da: 0
      0xa2db: 0
      0xa2e4: 0
      0xa2e5: 0
      0xa2e6: 0
      0xa2f8: 0
      0xa2f9: 0
      0xa310: 0
      0xa313: 0
      0xa316: 0
      0xc258: 0
      0xc25f: 0
      0xc262: 0
...
	.end_amdgpu_pal_metadata

// CHECK: 0x2c06 (SPI_SHADER_PGM_CHKSUM_PS)
// CHECK: 0x2c07 (SPI_SHADER_PGM_RSRC3_PS)
// CHECK: 0x2c0a (SPI_SHADER_PGM_RSRC1_PS)
// CHECK: 0x2c0b (SPI_SHADER_PGM_RSRC2_PS)
// CHECK: 0x2c0c (SPI_SHADER_USER_DATA_PS_0)
// CHECK: 0x2c0d (SPI_SHADER_USER_DATA_PS_1)
// CHECK: 0x2c0e (SPI_SHADER_USER_DATA_PS_2)
// CHECK: 0x2c0f (SPI_SHADER_USER_DATA_PS_3)
// CHECK: 0x2c10 (SPI_SHADER_USER_DATA_PS_4)
// CHECK: 0x2c11 (SPI_SHADER_USER_DATA_PS_5)
// CHECK: 0x2c12 (SPI_SHADER_USER_DATA_PS_6)
// CHECK: 0x2c13 (SPI_SHADER_USER_DATA_PS_7)
// CHECK: 0x2c14 (SPI_SHADER_USER_DATA_PS_8)
// CHECK: 0x2c15 (SPI_SHADER_USER_DATA_PS_9)
// CHECK: 0x2c16 (SPI_SHADER_USER_DATA_PS_10)
// CHECK: 0x2c17 (SPI_SHADER_USER_DATA_PS_11)
// CHECK: 0x2c18 (SPI_SHADER_USER_DATA_PS_12)
// CHECK: 0x2c19 (SPI_SHADER_USER_DATA_PS_13)
// CHECK: 0x2c1a (SPI_SHADER_USER_DATA_PS_14)
// CHECK: 0x2c1b (SPI_SHADER_USER_DATA_PS_15)
// CHECK: 0x2c1c (SPI_SHADER_USER_DATA_PS_16)
// CHECK: 0x2c1d (SPI_SHADER_USER_DATA_PS_17)
// CHECK: 0x2c1e (SPI_SHADER_USER_DATA_PS_18)
// CHECK: 0x2c1f (SPI_SHADER_USER_DATA_PS_19)
// CHECK: 0x2c20 (SPI_SHADER_USER_DATA_PS_20)
// CHECK: 0x2c21 (SPI_SHADER_USER_DATA_PS_21)
// CHECK: 0x2c22 (SPI_SHADER_USER_DATA_PS_22)
// CHECK: 0x2c23 (SPI_SHADER_USER_DATA_PS_23)
// CHECK: 0x2c24 (SPI_SHADER_USER_DATA_PS_24)
// CHECK: 0x2c25 (SPI_SHADER_USER_DATA_PS_25)
// CHECK: 0x2c26 (SPI_SHADER_USER_DATA_PS_26)
// CHECK: 0x2c27 (SPI_SHADER_USER_DATA_PS_27)
// CHECK: 0x2c28 (SPI_SHADER_USER_DATA_PS_28)
// CHECK: 0x2c29 (SPI_SHADER_USER_DATA_PS_29)
// CHECK: 0x2c2a (SPI_SHADER_USER_DATA_PS_30)
// CHECK: 0x2c2b (SPI_SHADER_USER_DATA_PS_31)
// CHECK: 0x2c32 (SPI_SHADER_USER_ACCUM_PS_0)
// CHECK: 0x2c33 (SPI_SHADER_USER_ACCUM_PS_1)
// CHECK: 0x2c34 (SPI_SHADER_USER_ACCUM_PS_2)
// CHECK: 0x2c35 (SPI_SHADER_USER_ACCUM_PS_3)
// CHECK: 0x2c45 (SPI_SHADER_PGM_CHKSUM_VS)
// CHECK: 0x2c46 (SPI_SHADER_PGM_RSRC3_VS)
// CHECK: 0x2c4a (SPI_SHADER_PGM_RSRC1_VS)
// CHECK: 0x2c4b (SPI_SHADER_PGM_RSRC2_VS)
// CHECK: 0x2c4c (SPI_SHADER_USER_DATA_VS_0)
// CHECK: 0x2c4d (SPI_SHADER_USER_DATA_VS_1)
// CHECK: 0x2c4e (SPI_SHADER_USER_DATA_VS_2)
// CHECK: 0x2c4f (SPI_SHADER_USER_DATA_VS_3)
// CHECK: 0x2c50 (SPI_SHADER_USER_DATA_VS_4)
// CHECK: 0x2c51 (SPI_SHADER_USER_DATA_VS_5)
// CHECK: 0x2c52 (SPI_SHADER_USER_DATA_VS_6)
// CHECK: 0x2c53 (SPI_SHADER_USER_DATA_VS_7)
// CHECK: 0x2c54 (SPI_SHADER_USER_DATA_VS_8)
// CHECK: 0x2c55 (SPI_SHADER_USER_DATA_VS_9)
// CHECK: 0x2c56 (SPI_SHADER_USER_DATA_VS_10)
// CHECK: 0x2c57 (SPI_SHADER_USER_DATA_VS_11)
// CHECK: 0x2c58 (SPI_SHADER_USER_DATA_VS_12)
// CHECK: 0x2c59 (SPI_SHADER_USER_DATA_VS_13)
// CHECK: 0x2c5a (SPI_SHADER_USER_DATA_VS_14)
// CHECK: 0x2c5b (SPI_SHADER_USER_DATA_VS_15)
// CHECK: 0x2c5c (SPI_SHADER_USER_DATA_VS_16)
// CHECK: 0x2c5d (SPI_SHADER_USER_DATA_VS_17)
// CHECK: 0x2c5e (SPI_SHADER_USER_DATA_VS_18)
// CHECK: 0x2c5f (SPI_SHADER_USER_DATA_VS_19)
// CHECK: 0x2c60 (SPI_SHADER_USER_DATA_VS_20)
// CHECK: 0x2c61 (SPI_SHADER_USER_DATA_VS_21)
// CHECK: 0x2c62 (SPI_SHADER_USER_DATA_VS_22)
// CHECK: 0x2c63 (SPI_SHADER_USER_DATA_VS_23)
// CHECK: 0x2c64 (SPI_SHADER_USER_DATA_VS_24)
// CHECK: 0x2c65 (SPI_SHADER_USER_DATA_VS_25)
// CHECK: 0x2c66 (SPI_SHADER_USER_DATA_VS_26)
// CHECK: 0x2c67 (SPI_SHADER_USER_DATA_VS_27)
// CHECK: 0x2c68 (SPI_SHADER_USER_DATA_VS_28)
// CHECK: 0x2c69 (SPI_SHADER_USER_DATA_VS_29)
// CHECK: 0x2c6a (SPI_SHADER_USER_DATA_VS_30)
// CHECK: 0x2c6b (SPI_SHADER_USER_DATA_VS_31)
// CHECK: 0x2c72 (SPI_SHADER_USER_ACCUM_VS_0)
// CHECK: 0x2c73 (SPI_SHADER_USER_ACCUM_VS_1)
// CHECK: 0x2c74 (SPI_SHADER_USER_ACCUM_VS_2)
// CHECK: 0x2c75 (SPI_SHADER_USER_ACCUM_VS_3)
// CHECK: 0x2c80 (SPI_SHADER_PGM_CHKSUM_GS)
// CHECK: 0x2c81 (SPI_SHADER_PGM_RSRC4_GS)
// CHECK: 0x2c87 (SPI_SHADER_PGM_RSRC3_GS)
// CHECK: 0x2c88 (SPI_SHADER_PGM_LO_GS)
// CHECK: 0x2c8a (SPI_SHADER_PGM_RSRC1_GS)
// CHECK: 0x2c8b (SPI_SHADER_PGM_RSRC2_GS)
// CHECK: 0x2c8c (SPI_SHADER_USER_DATA_GS_0)
// CHECK: 0x2c8d (SPI_SHADER_USER_DATA_GS_1)
// CHECK: 0x2c8e (SPI_SHADER_USER_DATA_GS_2)
// CHECK: 0x2c8f (SPI_SHADER_USER_DATA_GS_3)
// CHECK: 0x2c90 (SPI_SHADER_USER_DATA_GS_4)
// CHECK: 0x2c91 (SPI_SHADER_USER_DATA_GS_5)
// CHECK: 0x2c92 (SPI_SHADER_USER_DATA_GS_6)
// CHECK: 0x2c93 (SPI_SHADER_USER_DATA_GS_7)
// CHECK: 0x2c94 (SPI_SHADER_USER_DATA_GS_8)
// CHECK: 0x2c95 (SPI_SHADER_USER_DATA_GS_9)
// CHECK: 0x2c96 (SPI_SHADER_USER_DATA_GS_10)
// CHECK: 0x2c97 (SPI_SHADER_USER_DATA_GS_11)
// CHECK: 0x2c98 (SPI_SHADER_USER_DATA_GS_12)
// CHECK: 0x2c99 (SPI_SHADER_USER_DATA_GS_13)
// CHECK: 0x2c9a (SPI_SHADER_USER_DATA_GS_14)
// CHECK: 0x2c9b (SPI_SHADER_USER_DATA_GS_15)
// CHECK: 0x2c9c (SPI_SHADER_USER_DATA_GS_16)
// CHECK: 0x2c9d (SPI_SHADER_USER_DATA_GS_17)
// CHECK: 0x2c9e (SPI_SHADER_USER_DATA_GS_18)
// CHECK: 0x2c9f (SPI_SHADER_USER_DATA_GS_19)
// CHECK: 0x2ca0 (SPI_SHADER_USER_DATA_GS_20)
// CHECK: 0x2ca1 (SPI_SHADER_USER_DATA_GS_21)
// CHECK: 0x2ca2 (SPI_SHADER_USER_DATA_GS_22)
// CHECK: 0x2ca3 (SPI_SHADER_USER_DATA_GS_23)
// CHECK: 0x2ca4 (SPI_SHADER_USER_DATA_GS_24)
// CHECK: 0x2ca5 (SPI_SHADER_USER_DATA_GS_25)
// CHECK: 0x2ca6 (SPI_SHADER_USER_DATA_GS_26)
// CHECK: 0x2ca7 (SPI_SHADER_USER_DATA_GS_27)
// CHECK: 0x2ca8 (SPI_SHADER_USER_DATA_GS_28)
// CHECK: 0x2ca9 (SPI_SHADER_USER_DATA_GS_29)
// CHECK: 0x2caa (SPI_SHADER_USER_DATA_GS_30)
// CHECK: 0x2cab (SPI_SHADER_USER_DATA_GS_31)
// CHECK: 0x2cb2 (SPI_SHADER_USER_ACCUM_ESGS_0)
// CHECK: 0x2cb3 (SPI_SHADER_USER_ACCUM_ESGS_1)
// CHECK: 0x2cb4 (SPI_SHADER_USER_ACCUM_ESGS_2)
// CHECK: 0x2cb5 (SPI_SHADER_USER_ACCUM_ESGS_3)
// CHECK: 0x2cc7 (SPI_SHADER_PGM_RSRC3_ES)
// CHECK: 0x2cca (SPI_SHADER_PGM_RSRC1_ES)
// CHECK: 0x2ccb (SPI_SHADER_PGM_RSRC2_ES)
// CHECK: 0x2ccc (SPI_SHADER_USER_DATA_ES_0)
// CHECK: 0x2ccd (SPI_SHADER_USER_DATA_ES_1)
// CHECK: 0x2cce (SPI_SHADER_USER_DATA_ES_2)
// CHECK: 0x2ccf (SPI_SHADER_USER_DATA_ES_3)
// CHECK: 0x2cd0 (SPI_SHADER_USER_DATA_ES_4)
// CHECK: 0x2cd1 (SPI_SHADER_USER_DATA_ES_5)
// CHECK: 0x2cd2 (SPI_SHADER_USER_DATA_ES_6)
// CHECK: 0x2cd3 (SPI_SHADER_USER_DATA_ES_7)
// CHECK: 0x2cd4 (SPI_SHADER_USER_DATA_ES_8)
// CHECK: 0x2cd5 (SPI_SHADER_USER_DATA_ES_9)
// CHECK: 0x2cd6 (SPI_SHADER_USER_DATA_ES_10)
// CHECK: 0x2cd7 (SPI_SHADER_USER_DATA_ES_11)
// CHECK: 0x2cd8 (SPI_SHADER_USER_DATA_ES_12)
// CHECK: 0x2cd9 (SPI_SHADER_USER_DATA_ES_13)
// CHECK: 0x2cda (SPI_SHADER_USER_DATA_ES_14)
// CHECK: 0x2cdb (SPI_SHADER_USER_DATA_ES_15)
// CHECK: 0x2cdc (SPI_SHADER_USER_DATA_ES_16)
// CHECK: 0x2cdd (SPI_SHADER_USER_DATA_ES_17)
// CHECK: 0x2cde (SPI_SHADER_USER_DATA_ES_18)
// CHECK: 0x2cdf (SPI_SHADER_USER_DATA_ES_19)
// CHECK: 0x2ce0 (SPI_SHADER_USER_DATA_ES_20)
// CHECK: 0x2ce1 (SPI_SHADER_USER_DATA_ES_21)
// CHECK: 0x2ce2 (SPI_SHADER_USER_DATA_ES_22)
// CHECK: 0x2ce3 (SPI_SHADER_USER_DATA_ES_23)
// CHECK: 0x2ce4 (SPI_SHADER_USER_DATA_ES_24)
// CHECK: 0x2ce5 (SPI_SHADER_USER_DATA_ES_25)
// CHECK: 0x2ce6 (SPI_SHADER_USER_DATA_ES_26)
// CHECK: 0x2ce7 (SPI_SHADER_USER_DATA_ES_27)
// CHECK: 0x2ce8 (SPI_SHADER_USER_DATA_ES_28)
// CHECK: 0x2ce9 (SPI_SHADER_USER_DATA_ES_29)
// CHECK: 0x2cea (SPI_SHADER_USER_DATA_ES_30)
// CHECK: 0x2ceb (SPI_SHADER_USER_DATA_ES_31)
// CHECK: 0x2d00 (SPI_SHADER_PGM_CHKSUM_HS)
// CHECK: 0x2d07 (SPI_SHADER_PGM_RSRC3_HS)
// CHECK: 0x2d0a (SPI_SHADER_PGM_RSRC1_HS)
// CHECK: 0x2d0b (SPI_SHADER_PGM_RSRC2_HS)
// CHECK: 0x2d0c (SPI_SHADER_USER_DATA_HS_0)
// CHECK: 0x2d0d (SPI_SHADER_USER_DATA_HS_1)
// CHECK: 0x2d0e (SPI_SHADER_USER_DATA_HS_2)
// CHECK: 0x2d0f (SPI_SHADER_USER_DATA_HS_3)
// CHECK: 0x2d10 (SPI_SHADER_USER_DATA_HS_4)
// CHECK: 0x2d11 (SPI_SHADER_USER_DATA_HS_5)
// CHECK: 0x2d12 (SPI_SHADER_USER_DATA_HS_6)
// CHECK: 0x2d13 (SPI_SHADER_USER_DATA_HS_7)
// CHECK: 0x2d14 (SPI_SHADER_USER_DATA_HS_8)
// CHECK: 0x2d15 (SPI_SHADER_USER_DATA_HS_9)
// CHECK: 0x2d16 (SPI_SHADER_USER_DATA_HS_10)
// CHECK: 0x2d17 (SPI_SHADER_USER_DATA_HS_11)
// CHECK: 0x2d18 (SPI_SHADER_USER_DATA_HS_12)
// CHECK: 0x2d19 (SPI_SHADER_USER_DATA_HS_13)
// CHECK: 0x2d1a (SPI_SHADER_USER_DATA_HS_14)
// CHECK: 0x2d1b (SPI_SHADER_USER_DATA_HS_15)
// CHECK: 0x2d1c (SPI_SHADER_USER_DATA_HS_16)
// CHECK: 0x2d1d (SPI_SHADER_USER_DATA_HS_17)
// CHECK: 0x2d1e (SPI_SHADER_USER_DATA_HS_18)
// CHECK: 0x2d1f (SPI_SHADER_USER_DATA_HS_19)
// CHECK: 0x2d20 (SPI_SHADER_USER_DATA_HS_20)
// CHECK: 0x2d21 (SPI_SHADER_USER_DATA_HS_21)
// CHECK: 0x2d22 (SPI_SHADER_USER_DATA_HS_22)
// CHECK: 0x2d23 (SPI_SHADER_USER_DATA_HS_23)
// CHECK: 0x2d24 (SPI_SHADER_USER_DATA_HS_24)
// CHECK: 0x2d25 (SPI_SHADER_USER_DATA_HS_25)
// CHECK: 0x2d26 (SPI_SHADER_USER_DATA_HS_26)
// CHECK: 0x2d27 (SPI_SHADER_USER_DATA_HS_27)
// CHECK: 0x2d28 (SPI_SHADER_USER_DATA_HS_28)
// CHECK: 0x2d29 (SPI_SHADER_USER_DATA_HS_29)
// CHECK: 0x2d2a (SPI_SHADER_USER_DATA_HS_30)
// CHECK: 0x2d2b (SPI_SHADER_USER_DATA_HS_31)
// CHECK: 0x2d32 (SPI_SHADER_USER_ACCUM_LSHS_0)
// CHECK: 0x2d33 (SPI_SHADER_USER_ACCUM_LSHS_1)
// CHECK: 0x2d34 (SPI_SHADER_USER_ACCUM_LSHS_2)
// CHECK: 0x2d35 (SPI_SHADER_USER_ACCUM_LSHS_3)
// CHECK: 0x2d47 (SPI_SHADER_PGM_RSRC3_LS)
// CHECK: 0x2d4a (SPI_SHADER_PGM_RSRC1_LS)
// CHECK: 0x2d4b (SPI_SHADER_PGM_RSRC2_LS)
// CHECK: 0x2d4c (SPI_SHADER_USER_DATA_LS_0)
// CHECK: 0x2d4d (SPI_SHADER_USER_DATA_LS_1)
// CHECK: 0x2d4e (SPI_SHADER_USER_DATA_LS_2)
// CHECK: 0x2d4f (SPI_SHADER_USER_DATA_LS_3)
// CHECK: 0x2d50 (SPI_SHADER_USER_DATA_LS_4)
// CHECK: 0x2d51 (SPI_SHADER_USER_DATA_LS_5)
// CHECK: 0x2d52 (SPI_SHADER_USER_DATA_LS_6)
// CHECK: 0x2d53 (SPI_SHADER_USER_DATA_LS_7)
// CHECK: 0x2d54 (SPI_SHADER_USER_DATA_LS_8)
// CHECK: 0x2d55 (SPI_SHADER_USER_DATA_LS_9)
// CHECK: 0x2d56 (SPI_SHADER_USER_DATA_LS_10)
// CHECK: 0x2d57 (SPI_SHADER_USER_DATA_LS_11)
// CHECK: 0x2d58 (SPI_SHADER_USER_DATA_LS_12)
// CHECK: 0x2d59 (SPI_SHADER_USER_DATA_LS_13)
// CHECK: 0x2d5a (SPI_SHADER_USER_DATA_LS_14)
// CHECK: 0x2d5b (SPI_SHADER_USER_DATA_LS_15)
// CHECK: 0x2e00 (COMPUTE_DISPATCH_INITIATOR)
// CHECK: 0x2e07 (COMPUTE_NUM_THREAD_X)
// CHECK: 0x2e08 (COMPUTE_NUM_THREAD_Y)
// CHECK: 0x2e09 (COMPUTE_NUM_THREAD_Z)
// CHECK: 0x2e12 (COMPUTE_PGM_RSRC1)
// CHECK: 0x2e13 (COMPUTE_PGM_RSRC2)
// CHECK: 0x2e18 (COMPUTE_TMPRING_SIZE)
// CHECK: 0x2e24 (COMPUTE_USER_ACCUM_0)
// CHECK: 0x2e25 (COMPUTE_USER_ACCUM_1)
// CHECK: 0x2e26 (COMPUTE_USER_ACCUM_2)
// CHECK: 0x2e27 (COMPUTE_USER_ACCUM_3)
// CHECK: 0x2e28 (COMPUTE_PGM_RSRC3)
// CHECK: 0x2e2a (COMPUTE_SHADER_CHKSUM)
// CHECK: 0x2e40 (COMPUTE_USER_DATA_0)
// CHECK: 0x2e41 (COMPUTE_USER_DATA_1)
// CHECK: 0x2e42 (COMPUTE_USER_DATA_2)
// CHECK: 0x2e43 (COMPUTE_USER_DATA_3)
// CHECK: 0x2e44 (COMPUTE_USER_DATA_4)
// CHECK: 0x2e45 (COMPUTE_USER_DATA_5)
// CHECK: 0x2e46 (COMPUTE_USER_DATA_6)
// CHECK: 0x2e47 (COMPUTE_USER_DATA_7)
// CHECK: 0x2e48 (COMPUTE_USER_DATA_8)
// CHECK: 0x2e49 (COMPUTE_USER_DATA_9)
// CHECK: 0x2e4a (COMPUTE_USER_DATA_10)
// CHECK: 0x2e4b (COMPUTE_USER_DATA_11)
// CHECK: 0x2e4c (COMPUTE_USER_DATA_12)
// CHECK: 0x2e4d (COMPUTE_USER_DATA_13)
// CHECK: 0x2e4e (COMPUTE_USER_DATA_14)
// CHECK: 0x2e4f (COMPUTE_USER_DATA_15)
// CHECK: 0x2e50 (COMPUTE_USER_DATA_16)
// CHECK: 0x2e51 (COMPUTE_USER_DATA_17)
// CHECK: 0x2e52 (COMPUTE_USER_DATA_18)
// CHECK: 0x2e53 (COMPUTE_USER_DATA_19)
// CHECK: 0x2e54 (COMPUTE_USER_DATA_20)
// CHECK: 0x2e55 (COMPUTE_USER_DATA_21)
// CHECK: 0x2e56 (COMPUTE_USER_DATA_22)
// CHECK: 0x2e57 (COMPUTE_USER_DATA_23)
// CHECK: 0x2e58 (COMPUTE_USER_DATA_24)
// CHECK: 0x2e59 (COMPUTE_USER_DATA_25)
// CHECK: 0x2e5a (COMPUTE_USER_DATA_26)
// CHECK: 0x2e5b (COMPUTE_USER_DATA_27)
// CHECK: 0x2e5c (COMPUTE_USER_DATA_28)
// CHECK: 0x2e5d (COMPUTE_USER_DATA_29)
// CHECK: 0x2e5e (COMPUTE_USER_DATA_30)
// CHECK: 0x2e5f (COMPUTE_USER_DATA_31)
// CHECK: 0xa08f (CB_SHADER_MASK)
// CHECK: 0xa191 (SPI_PS_INPUT_CNTL_0)
// CHECK: 0xa192 (SPI_PS_INPUT_CNTL_1)
// CHECK: 0xa193 (SPI_PS_INPUT_CNTL_2)
// CHECK: 0xa194 (SPI_PS_INPUT_CNTL_3)
// CHECK: 0xa195 (SPI_PS_INPUT_CNTL_4)
// CHECK: 0xa196 (SPI_PS_INPUT_CNTL_5)
// CHECK: 0xa197 (SPI_PS_INPUT_CNTL_6)
// CHECK: 0xa198 (SPI_PS_INPUT_CNTL_7)
// CHECK: 0xa199 (SPI_PS_INPUT_CNTL_8)
// CHECK: 0xa19a (SPI_PS_INPUT_CNTL_9)
// CHECK: 0xa19b (SPI_PS_INPUT_CNTL_10)
// CHECK: 0xa19c (SPI_PS_INPUT_CNTL_11)
// CHECK: 0xa19d (SPI_PS_INPUT_CNTL_12)
// CHECK: 0xa19e (SPI_PS_INPUT_CNTL_13)
// CHECK: 0xa19f (SPI_PS_INPUT_CNTL_14)
// CHECK: 0xa1a0 (SPI_PS_INPUT_CNTL_15)
// CHECK: 0xa1a1 (SPI_PS_INPUT_CNTL_16)
// CHECK: 0xa1a2 (SPI_PS_INPUT_CNTL_17)
// CHECK: 0xa1a3 (SPI_PS_INPUT_CNTL_18)
// CHECK: 0xa1a4 (SPI_PS_INPUT_CNTL_19)
// CHECK: 0xa1a5 (SPI_PS_INPUT_CNTL_20)
// CHECK: 0xa1a6 (SPI_PS_INPUT_CNTL_21)
// CHECK: 0xa1a7 (SPI_PS_INPUT_CNTL_22)
// CHECK: 0xa1a8 (SPI_PS_INPUT_CNTL_23)
// CHECK: 0xa1a9 (SPI_PS_INPUT_CNTL_24)
// CHECK: 0xa1aa (SPI_PS_INPUT_CNTL_25)
// CHECK: 0xa1ab (SPI_PS_INPUT_CNTL_26)
// CHECK: 0xa1ac (SPI_PS_INPUT_CNTL_27)
// CHECK: 0xa1ad (SPI_PS_INPUT_CNTL_28)
// CHECK: 0xa1ae (SPI_PS_INPUT_CNTL_29)
// CHECK: 0xa1af (SPI_PS_INPUT_CNTL_30)
// CHECK: 0xa1b0 (SPI_PS_INPUT_CNTL_31)
// CHECK: 0xa1b1 (SPI_VS_OUT_CONFIG)
// CHECK: 0xa1b3 (SPI_PS_INPUT_ENA)
// CHECK: 0xa1b4 (SPI_PS_INPUT_ADDR)
// CHECK: 0xa1b5 (SPI_INTERP_CONTROL_0)
// CHECK: 0xa1b6 (SPI_PS_IN_CONTROL)
// CHECK: 0xa1b8 (SPI_BARYC_CNTL)
// CHECK: 0xa1ba (SPI_TMPRING_SIZE)
// CHECK: 0xa1c2 (SPI_SHADER_IDX_FORMAT)
// CHECK: 0xa1c3 (SPI_SHADER_POS_FORMAT)
// CHECK: 0xa1c4 (SPI_SHADER_Z_FORMAT)
// CHECK: 0xa1c5 (SPI_SHADER_COL_FORMAT)
// CHECK: 0xa1ff (GE_MAX_OUTPUT_PER_SUBGROUP)
// CHECK: 0xa203 (DB_SHADER_CONTROL)
// CHECK: 0xa204 (PA_CL_CLIP_CNTL)
// CHECK: 0xa206 (PA_CL_VTE_CNTL)
// CHECK: 0xa207 (PA_CL_VS_OUT_CNTL)
// CHECK: 0xa210 (PA_STEREO_CNTL)
// CHECK: 0xa286 (VGT_HOS_MAX_TESS_LEVEL)
// CHECK: 0xa287 (VGT_HOS_MIN_TESS_LEVEL)
// CHECK: 0xa290 (VGT_GS_MODE)
// CHECK: 0xa291 (VGT_GS_ONCHIP_CNTL)
// CHECK: 0xa293 (PA_SC_MODE_CNTL_1)
// CHECK: 0xa297 (VGT_GS_PER_VS)
// CHECK: 0xa298 (VGT_GSVS_RING_OFFSET_1)
// CHECK: 0xa299 (VGT_GSVS_RING_OFFSET_2)
// CHECK: 0xa29a (VGT_GSVS_RING_OFFSET_3)
// CHECK: 0xa29b (VGT_GS_OUT_PRIM_TYPE)
// CHECK: 0xa2a1 (VGT_PRIMITIVEID_EN)
// CHECK: 0xa2a5 (VGT_GS_MAX_PRIMS_PER_SUBGROUP)
// CHECK: 0xa2aa (IA_MULTI_VGT_PARAM)
// CHECK: 0xa2ab (VGT_ESGS_RING_ITEMSIZE)
// CHECK: 0xa2ac (VGT_GSVS_RING_ITEMSIZE)
// CHECK: 0xa2ad (VGT_REUSE_OFF)
// CHECK: 0xa2b5 (VGT_STRMOUT_VTX_STRIDE_0)
// CHECK: 0xa2b9 (VGT_STRMOUT_VTX_STRIDE_1)
// CHECK: 0xa2bd (VGT_STRMOUT_VTX_STRIDE_2)
// CHECK: 0xa2c1 (VGT_STRMOUT_VTX_STRIDE_3)
// CHECK: 0xa2ce (VGT_GS_MAX_VERT_OUT)
// CHECK: 0xa2d3 (GE_NGG_SUBGRP_CNTL)
// CHECK: 0xa2d5 (VGT_SHADER_STAGES_EN)
// CHECK: 0xa2d6 (VGT_LS_HS_CONFIG)
// CHECK: 0xa2d7 (VGT_GS_VERT_ITEMSIZE)
// CHECK: 0xa2d8 (VGT_GS_VERT_ITEMSIZE_1)
// CHECK: 0xa2d9 (VGT_GS_VERT_ITEMSIZE_2)
// CHECK: 0xa2da (VGT_GS_VERT_ITEMSIZE_3)
// CHECK: 0xa2db (VGT_TF_PARAM)
// CHECK: 0xa2e4 (VGT_GS_INSTANCE_CNT)
// CHECK: 0xa2e5 (VGT_STRMOUT_CONFIG)
// CHECK: 0xa2e6 (VGT_STRMOUT_BUFFER_CONFIG)
// CHECK: 0xa2f8 (PA_SC_AA_CONFIG)
// CHECK: 0xa2f9 (PA_SU_VTX_CNTL)
// CHECK: 0xa310 (PA_SC_SHADER_CONTROL)
// CHECK: 0xa313 (PA_SC_CONSERVATIVE_RASTERIZATION_CNTL)
// CHECK: 0xa316 (VGT_VERTEX_REUSE_BLOCK_CNTL)
// CHECK: 0xc258 (IA_MULTI_VGT_PARAM_PIPED)
// CHECK: 0xc25f (GE_STEREO_CNTL)
// CHECK: 0xc262 (GE_USER_VGPR_EN)
